;; amdgpu-corpus repo=zjin-lcf/HeCBench kind=compiled arch=gfx906 opt=O3
	.amdgcn_target "amdgcn-amd-amdhsa--gfx906"
	.amdhsa_code_object_version 6
	.text
	.protected	_Z13render_kernelPhPK7_Sphere6_Planeiii ; -- Begin function _Z13render_kernelPhPK7_Sphere6_Planeiii
	.globl	_Z13render_kernelPhPK7_Sphere6_Planeiii
	.p2align	8
	.type	_Z13render_kernelPhPK7_Sphere6_Planeiii,@function
_Z13render_kernelPhPK7_Sphere6_Planeiii: ; @_Z13render_kernelPhPK7_Sphere6_Planeiii
; %bb.0:
	s_mov_b64 s[54:55], s[2:3]
	s_mov_b64 s[52:53], s[0:1]
	s_add_u32 s52, s52, s8
	s_load_dword s0, s[4:5], 0x44
	s_load_dwordx8 s[8:15], s[4:5], 0x10
	s_addc_u32 s53, s53, 0
	s_waitcnt lgkmcnt(0)
	s_lshr_b32 s1, s0, 16
	s_and_b32 s0, s0, 0xffff
	s_mul_i32 s6, s6, s0
	s_mul_i32 s7, s7, s1
	v_add_u32_e32 v2, s6, v0
	v_add_u32_e32 v0, s7, v1
	v_cmp_gt_i32_e32 vcc, s14, v0
	v_cmp_gt_i32_e64 s[0:1], s15, v2
	s_and_b64 s[0:1], s[0:1], vcc
	s_and_saveexec_b64 s[2:3], s[0:1]
	s_cbranch_execz .LBB0_65
; %bb.1:
	s_load_dword s33, s[4:5], 0x30
	s_load_dwordx4 s[24:27], s[4:5], 0x0
	v_mad_u64_u32 v[14:15], s[0:1], v0, s15, v[2:3]
	s_waitcnt lgkmcnt(0)
	s_cmp_lt_i32 s33, 1
	s_cbranch_scc1 .LBB0_63
; %bb.2:
	v_cvt_f32_i32_e32 v2, v2
	v_cvt_f32_i32_e32 v0, v0
	;; [unrolled: 1-line block ×3, first 2 shown]
	s_load_dwordx8 s[16:23], s[26:27], 0x0
	buffer_store_dword v2, off, s[52:55], 0 ; 4-byte Folded Spill
	v_cvt_f32_i32_e32 v2, s14
	buffer_store_dword v0, off, s[52:55], 0 offset:28 ; 4-byte Folded Spill
	v_mul_f32_e32 v8, 0.5, v1
	s_load_dwordx4 s[28:31], s[26:27], 0x20
	v_mul_f32_e32 v0, 0.5, v2
	buffer_store_dword v0, off, s[52:55], 0 offset:32 ; 4-byte Folded Spill
	v_mov_b32_e32 v0, s12
	v_mul_f32_e32 v1, s9, v0
	v_mov_b32_e32 v0, s11
	v_fmac_f32_e32 v1, s8, v0
	v_mov_b32_e32 v0, s13
	v_fmac_f32_e32 v1, s10, v0
	v_mul_f32_e64 v0, s12, 0
	v_fmac_f32_e64 v0, s11, 0
	v_fmac_f32_e64 v0, s13, 0
	buffer_store_dword v1, off, s[52:55], 0 offset:20 ; 4-byte Folded Spill
	v_sub_f32_e32 v12, v0, v1
	s_waitcnt lgkmcnt(0)
	v_sub_f32_e64 v1, 0, s16
	v_mul_f32_e64 v0, -s17, -s17
	v_sub_f32_e64 v2, 0, s18
	v_fmac_f32_e32 v0, v1, v1
	v_fmac_f32_e32 v0, v2, v2
	buffer_store_dword v1, off, s[52:55], 0 offset:12 ; 4-byte Folded Spill
	v_mul_f32_e64 v1, s19, s19
	v_fma_f32 v0, s19, s19, -v0
	buffer_store_dword v1, off, s[52:55], 0 offset:24 ; 4-byte Folded Spill
	buffer_store_dword v0, off, s[52:55], 0 offset:4 ; 4-byte Folded Spill
	v_sub_f32_e64 v1, 0, s20
	v_mul_f32_e64 v0, -s21, -s21
	buffer_store_dword v2, off, s[52:55], 0 offset:16 ; 4-byte Folded Spill
	v_sub_f32_e64 v2, 0, s22
	v_fmac_f32_e32 v0, v1, v1
	v_fmac_f32_e32 v0, v2, v2
	v_fma_f32 v0, s23, s23, -v0
	v_cvt_f32_u32_e32 v7, s33
	v_mov_b32_e32 v20, v1
	buffer_store_dword v0, off, s[52:55], 0 offset:8 ; 4-byte Folded Spill
	v_sub_f32_e64 v1, 0, s28
	v_mul_f32_e64 v0, -s29, -s29
	v_mov_b32_e32 v21, v2
	v_sub_f32_e64 v2, 0, s30
	v_fmac_f32_e32 v0, v1, v1
	v_fmac_f32_e32 v0, v2, v2
	s_mov_b32 s10, 0
	v_mov_b32_e32 v15, v1
	v_mov_b32_e32 v19, v2
	v_fma_f32 v22, s31, s31, -v0
	s_mov_b32 s19, 0xf800000
	s_mov_b32 s23, 0x233877aa
	;; [unrolled: 1-line block ×4, first 2 shown]
	s_brev_b32 s35, 18
	s_mov_b32 s36, 0xfe5163ab
	s_mov_b32 s37, 0x3c439041
	;; [unrolled: 1-line block ×10, first 2 shown]
	s_movk_i32 s46, 0x1f8
	s_mov_b32 s47, 0x5bb1a2bc
	v_mov_b32_e32 v16, 0
	v_mov_b32_e32 v23, 0x260
	;; [unrolled: 1-line block ×5, first 2 shown]
	v_not_b32_e32 v27, 63
	v_not_b32_e32 v28, 31
	v_mov_b32_e32 v29, 0x7fc00000
	v_mov_b32_e32 v17, 0
	;; [unrolled: 1-line block ×6, first 2 shown]
	buffer_store_dword v0, off, s[52:55], 0 offset:36 ; 4-byte Folded Spill
	s_nop 0
	buffer_store_dword v1, off, s[52:55], 0 offset:40 ; 4-byte Folded Spill
                                        ; implicit-def: $vgpr30
                                        ; implicit-def: $vgpr32
                                        ; implicit-def: $vgpr33
                                        ; implicit-def: $vgpr34
                                        ; implicit-def: $vgpr35
                                        ; implicit-def: $vgpr36
	s_branch .LBB0_4
.LBB0_3:                                ;   in Loop: Header=BB0_4 Depth=1
	s_add_i32 s10, s10, 1
	s_cmp_eq_u32 s10, s33
	s_cbranch_scc1 .LBB0_62
.LBB0_4:                                ; =>This Loop Header: Depth=1
                                        ;     Child Loop BB0_7 Depth 2
                                        ;       Child Loop BB0_44 Depth 3
                                        ;         Child Loop BB0_46 Depth 4
	v_cvt_f32_u32_e32 v0, s10
	s_mov_b32 s48, 0
	buffer_load_dword v9, off, s[52:55], 0 offset:32 ; 4-byte Folded Reload
	v_div_scale_f32 v1, s[0:1], v7, v7, v0
	v_div_scale_f32 v3, vcc, v0, v7, v0
	v_rcp_f32_e32 v4, v1
	v_fma_f32 v5, -v1, v4, 1.0
	v_fmac_f32_e32 v4, v5, v4
	v_mul_f32_e32 v5, v3, v4
	v_fma_f32 v6, -v1, v5, v3
	v_fmac_f32_e32 v5, v6, v4
	v_fma_f32 v1, -v1, v5, v3
	v_div_fmas_f32 v1, v1, v4, v5
	v_div_fixup_f32 v0, v1, v7, v0
	buffer_load_dword v1, off, s[52:55], 0 offset:28 ; 4-byte Folded Reload
	s_waitcnt vmcnt(0)
	v_add_f32_e32 v0, v0, v1
	v_sub_f32_e32 v0, v0, v9
	v_div_scale_f32 v1, s[0:1], v9, v9, -v0
	v_div_scale_f32 v3, vcc, -v0, v9, -v0
	v_rcp_f32_e32 v4, v1
	v_fma_f32 v5, -v1, v4, 1.0
	v_fmac_f32_e32 v4, v5, v4
	v_mul_f32_e32 v5, v3, v4
	v_fma_f32 v6, -v1, v5, v3
	v_fmac_f32_e32 v5, v6, v4
	v_fma_f32 v1, -v1, v5, v3
	v_div_fmas_f32 v1, v1, v4, v5
	v_div_fixup_f32 v37, v1, v9, -v0
	s_branch .LBB0_7
.LBB0_5:                                ;   in Loop: Header=BB0_7 Depth=2
	v_sub_f32_e32 v0, 0x42800000, v56
	v_fmac_f32_e32 v16, 0x3c800000, v0
	v_fmac_f32_e32 v17, 0x3c800000, v0
	;; [unrolled: 1-line block ×3, first 2 shown]
.LBB0_6:                                ;   in Loop: Header=BB0_7 Depth=2
	s_or_b64 exec, exec, s[6:7]
	s_add_i32 s48, s48, 1
	s_cmp_eq_u32 s48, s33
	s_cbranch_scc1 .LBB0_3
.LBB0_7:                                ;   Parent Loop BB0_4 Depth=1
                                        ; =>  This Loop Header: Depth=2
                                        ;       Child Loop BB0_44 Depth 3
                                        ;         Child Loop BB0_46 Depth 4
	v_cvt_f32_u32_e32 v0, s48
	v_mov_b32_e32 v38, -1.0
	v_mov_b32_e32 v39, v37
	v_div_scale_f32 v1, s[0:1], v7, v7, v0
	v_div_scale_f32 v3, vcc, v0, v7, v0
	v_rcp_f32_e32 v4, v1
	v_fma_f32 v5, -v1, v4, 1.0
	v_fmac_f32_e32 v4, v5, v4
	v_mul_f32_e32 v5, v3, v4
	v_fma_f32 v6, -v1, v5, v3
	v_fmac_f32_e32 v5, v6, v4
	v_fma_f32 v1, -v1, v5, v3
	v_div_fmas_f32 v1, v1, v4, v5
	v_div_fixup_f32 v0, v1, v7, v0
	buffer_load_dword v1, off, s[52:55], 0  ; 4-byte Folded Reload
	s_waitcnt vmcnt(0)
	v_add_f32_e32 v0, v0, v1
	v_sub_f32_e32 v0, v0, v8
	v_div_scale_f32 v1, s[0:1], v8, v8, v0
	v_div_scale_f32 v3, vcc, v0, v8, v0
	v_rcp_f32_e32 v4, v1
	v_fma_f32 v5, -v1, v4, 1.0
	v_fmac_f32_e32 v4, v5, v4
	v_mul_f32_e32 v5, v3, v4
	v_fma_f32 v6, -v1, v5, v3
	v_fmac_f32_e32 v5, v6, v4
	v_fma_f32 v1, -v1, v5, v3
	v_div_fmas_f32 v1, v1, v4, v5
	v_mul_f32_e32 v3, v37, v37
	v_div_fixup_f32 v1, v1, v8, v0
	v_fma_f32 v0, v1, v1, v3
	v_add_f32_e32 v0, 1.0, v0
	v_mul_f32_e32 v3, 0x4f800000, v0
	v_cmp_gt_f32_e32 vcc, s19, v0
	v_cndmask_b32_e32 v0, v0, v3, vcc
	v_sqrt_f32_e32 v3, v0
	v_add_u32_e32 v4, -1, v3
	v_add_u32_e32 v5, 1, v3
	v_fma_f32 v6, -v4, v3, v0
	v_fma_f32 v9, -v5, v3, v0
	v_cmp_ge_f32_e64 s[0:1], 0, v6
	v_cndmask_b32_e64 v3, v3, v4, s[0:1]
	v_cmp_lt_f32_e64 s[0:1], 0, v9
	v_cndmask_b32_e64 v3, v3, v5, s[0:1]
	v_mul_f32_e32 v4, 0x37800000, v3
	v_cndmask_b32_e32 v3, v3, v4, vcc
	v_cmp_class_f32_e32 vcc, v0, v23
	v_cndmask_b32_e32 v0, v3, v0, vcc
	v_cmp_gt_f32_e64 s[0:1], |v0|, s23
	s_and_saveexec_b64 s[4:5], s[0:1]
	s_cbranch_execz .LBB0_9
; %bb.8:                                ;   in Loop: Header=BB0_7 Depth=2
	v_div_scale_f32 v3, s[0:1], v0, v0, v1
	v_div_scale_f32 v4, s[0:1], v0, v0, v37
	v_div_scale_f32 v5, vcc, v1, v0, v1
	v_div_scale_f32 v9, s[2:3], v0, v0, -1.0
	v_div_scale_f32 v6, s[0:1], v37, v0, v37
	v_div_scale_f32 v13, s[2:3], -1.0, v0, -1.0
	v_rcp_f32_e32 v10, v3
	v_rcp_f32_e32 v11, v4
	v_fma_f32 v14, -v3, v10, 1.0
	v_fmac_f32_e32 v10, v14, v10
	v_mul_f32_e32 v14, v5, v10
	v_fma_f32 v39, -v3, v14, v5
	v_fma_f32 v38, -v4, v11, 1.0
	v_fmac_f32_e32 v14, v39, v10
	v_fmac_f32_e32 v11, v38, v11
	v_fma_f32 v3, -v3, v14, v5
	v_rcp_f32_e32 v5, v9
	v_mul_f32_e32 v38, v6, v11
	v_fma_f32 v40, -v4, v38, v6
	v_fmac_f32_e32 v38, v40, v11
	v_fma_f32 v4, -v4, v38, v6
	v_fma_f32 v6, -v9, v5, 1.0
	v_fmac_f32_e32 v5, v6, v5
	v_mul_f32_e32 v6, v13, v5
	v_div_fmas_f32 v3, v3, v10, v14
	v_fma_f32 v10, -v9, v6, v13
	s_mov_b64 vcc, s[0:1]
	v_fmac_f32_e32 v6, v10, v5
	v_div_fmas_f32 v4, v4, v11, v38
	v_fma_f32 v9, -v9, v6, v13
	s_mov_b64 vcc, s[2:3]
	v_div_fmas_f32 v5, v9, v5, v6
	v_div_fixup_f32 v1, v3, v0, v1
	v_div_fixup_f32 v39, v4, v0, v37
	v_div_fixup_f32 v38, v5, v0, -1.0
.LBB0_9:                                ;   in Loop: Header=BB0_7 Depth=2
	s_or_b64 exec, exec, s[4:5]
	buffer_load_dword v3, off, s[52:55], 0 offset:12 ; 4-byte Folded Reload
	v_sub_f32_e64 v0, 0, s17
	v_mul_f32_e32 v0, v39, v0
	v_mov_b32_e32 v41, 0x5bb1a2bc
	v_mov_b32_e32 v40, 0
	s_waitcnt vmcnt(0)
	v_fmac_f32_e32 v0, v1, v3
	buffer_load_dword v3, off, s[52:55], 0 offset:16 ; 4-byte Folded Reload
	s_waitcnt vmcnt(0)
	v_fmac_f32_e32 v0, v38, v3
	buffer_load_dword v3, off, s[52:55], 0 offset:4 ; 4-byte Folded Reload
	s_waitcnt vmcnt(0)
	v_fma_f32 v9, v0, v0, v3
	v_cmp_lt_f32_e32 vcc, 0, v9
	s_and_saveexec_b64 s[4:5], vcc
	s_cbranch_execz .LBB0_15
; %bb.10:                               ;   in Loop: Header=BB0_7 Depth=2
	v_mul_f32_e32 v3, 0x4f800000, v9
	v_cmp_gt_f32_e32 vcc, s19, v9
	v_cndmask_b32_e32 v3, v9, v3, vcc
	v_sqrt_f32_e32 v4, v3
	v_mov_b32_e32 v41, 0x5bb1a2bc
	v_mov_b32_e32 v40, 0
	v_add_u32_e32 v5, -1, v4
	v_fma_f32 v9, -v5, v4, v3
	v_add_u32_e32 v6, 1, v4
	v_cmp_ge_f32_e64 s[0:1], 0, v9
	v_cndmask_b32_e64 v5, v4, v5, s[0:1]
	v_fma_f32 v4, -v6, v4, v3
	v_cmp_lt_f32_e64 s[0:1], 0, v4
	v_cndmask_b32_e64 v4, v5, v6, s[0:1]
	v_mul_f32_e32 v5, 0x37800000, v4
	v_cndmask_b32_e32 v4, v4, v5, vcc
	v_cmp_class_f32_e32 vcc, v3, v23
	v_cndmask_b32_e32 v3, v4, v3, vcc
	v_sub_f32_e64 v0, -v0, v3
	v_cmp_lt_f32_e32 vcc, 0, v0
	v_cmp_lt_f32_e64 s[0:1], v0, v41
	s_and_b64 s[0:1], vcc, s[0:1]
	s_and_saveexec_b64 s[6:7], s[0:1]
	s_cbranch_execz .LBB0_14
; %bb.11:                               ;   in Loop: Header=BB0_7 Depth=2
	v_fma_f32 v32, v39, v0, 0
	v_fma_f32 v30, v1, v0, 0
	v_subrev_f32_e32 v35, s17, v32
	v_fma_f32 v33, v38, v0, 0
	v_subrev_f32_e32 v34, s16, v30
	v_mul_f32_e32 v3, v35, v35
	v_subrev_f32_e32 v36, s18, v33
	v_fmac_f32_e32 v3, v34, v34
	v_fmac_f32_e32 v3, v36, v36
	v_mul_f32_e32 v4, 0x4f800000, v3
	v_cmp_gt_f32_e32 vcc, s19, v3
	v_cndmask_b32_e32 v3, v3, v4, vcc
	v_sqrt_f32_e32 v4, v3
	v_add_u32_e32 v5, -1, v4
	v_fma_f32 v6, -v5, v4, v3
	v_cmp_ge_f32_e64 s[0:1], 0, v6
	v_add_u32_e32 v6, 1, v4
	v_cndmask_b32_e64 v5, v4, v5, s[0:1]
	v_fma_f32 v4, -v6, v4, v3
	v_cmp_lt_f32_e64 s[0:1], 0, v4
	v_cndmask_b32_e64 v4, v5, v6, s[0:1]
	v_mul_f32_e32 v5, 0x37800000, v4
	v_cndmask_b32_e32 v4, v4, v5, vcc
	v_cmp_class_f32_e32 vcc, v3, v23
	v_cndmask_b32_e32 v9, v4, v3, vcc
	v_cmp_gt_f32_e64 s[0:1], |v9|, s23
	s_and_saveexec_b64 s[8:9], s[0:1]
	s_cbranch_execz .LBB0_13
; %bb.12:                               ;   in Loop: Header=BB0_7 Depth=2
	v_div_scale_f32 v3, s[0:1], v9, v9, v34
	v_div_scale_f32 v4, s[0:1], v9, v9, v35
	v_div_scale_f32 v5, vcc, v34, v9, v34
	v_div_scale_f32 v10, s[2:3], v9, v9, v36
	v_div_scale_f32 v6, s[0:1], v35, v9, v35
	;; [unrolled: 1-line block ×3, first 2 shown]
	v_rcp_f32_e32 v11, v3
	v_rcp_f32_e32 v13, v4
	v_fma_f32 v40, -v3, v11, 1.0
	v_fmac_f32_e32 v11, v40, v11
	v_mul_f32_e32 v40, v5, v11
	v_fma_f32 v42, -v3, v40, v5
	v_fma_f32 v41, -v4, v13, 1.0
	v_fmac_f32_e32 v40, v42, v11
	v_fmac_f32_e32 v13, v41, v13
	v_fma_f32 v3, -v3, v40, v5
	v_rcp_f32_e32 v5, v10
	v_mul_f32_e32 v41, v6, v13
	v_fma_f32 v43, -v4, v41, v6
	v_fmac_f32_e32 v41, v43, v13
	v_fma_f32 v4, -v4, v41, v6
	v_fma_f32 v6, -v10, v5, 1.0
	v_fmac_f32_e32 v5, v6, v5
	v_mul_f32_e32 v6, v14, v5
	v_div_fmas_f32 v3, v3, v11, v40
	v_fma_f32 v11, -v10, v6, v14
	s_mov_b64 vcc, s[0:1]
	v_fmac_f32_e32 v6, v11, v5
	v_div_fmas_f32 v4, v4, v13, v41
	v_fma_f32 v10, -v10, v6, v14
	s_mov_b64 vcc, s[2:3]
	v_div_fmas_f32 v5, v10, v5, v6
	v_div_fixup_f32 v34, v3, v9, v34
	v_div_fixup_f32 v35, v4, v9, v35
	v_div_fixup_f32 v36, v5, v9, v36
.LBB0_13:                               ;   in Loop: Header=BB0_7 Depth=2
	s_or_b64 exec, exec, s[8:9]
	v_mov_b32_e32 v40, 1
	v_mov_b32_e32 v41, v0
.LBB0_14:                               ;   in Loop: Header=BB0_7 Depth=2
	s_or_b64 exec, exec, s[6:7]
.LBB0_15:                               ;   in Loop: Header=BB0_7 Depth=2
	s_or_b64 exec, exec, s[4:5]
	buffer_load_dword v3, off, s[52:55], 0 offset:8 ; 4-byte Folded Reload
	v_sub_f32_e64 v0, 0, s21
	v_mul_f32_e32 v0, v39, v0
	v_fmac_f32_e32 v0, v1, v20
	v_fmac_f32_e32 v0, v38, v21
	s_waitcnt vmcnt(0)
	v_fma_f32 v9, v0, v0, v3
	v_cmp_lt_f32_e32 vcc, 0, v9
	s_and_saveexec_b64 s[4:5], vcc
	s_cbranch_execz .LBB0_21
; %bb.16:                               ;   in Loop: Header=BB0_7 Depth=2
	v_mul_f32_e32 v3, 0x4f800000, v9
	v_cmp_gt_f32_e32 vcc, s19, v9
	v_cndmask_b32_e32 v3, v9, v3, vcc
	v_sqrt_f32_e32 v4, v3
	v_add_u32_e32 v5, -1, v4
	v_fma_f32 v9, -v5, v4, v3
	v_add_u32_e32 v6, 1, v4
	v_cmp_ge_f32_e64 s[0:1], 0, v9
	v_cndmask_b32_e64 v5, v4, v5, s[0:1]
	v_fma_f32 v4, -v6, v4, v3
	v_cmp_lt_f32_e64 s[0:1], 0, v4
	v_cndmask_b32_e64 v4, v5, v6, s[0:1]
	v_mul_f32_e32 v5, 0x37800000, v4
	v_cndmask_b32_e32 v4, v4, v5, vcc
	v_cmp_class_f32_e32 vcc, v3, v23
	v_cndmask_b32_e32 v3, v4, v3, vcc
	v_sub_f32_e64 v0, -v0, v3
	v_cmp_lt_f32_e32 vcc, 0, v0
	v_cmp_lt_f32_e64 s[0:1], v0, v41
	s_and_b64 s[0:1], vcc, s[0:1]
	s_and_saveexec_b64 s[6:7], s[0:1]
	s_cbranch_execz .LBB0_20
; %bb.17:                               ;   in Loop: Header=BB0_7 Depth=2
	v_fma_f32 v32, v39, v0, 0
	v_fma_f32 v30, v1, v0, 0
	v_subrev_f32_e32 v35, s21, v32
	v_fma_f32 v33, v38, v0, 0
	v_subrev_f32_e32 v34, s20, v30
	v_mul_f32_e32 v3, v35, v35
	v_subrev_f32_e32 v36, s22, v33
	v_fmac_f32_e32 v3, v34, v34
	v_fmac_f32_e32 v3, v36, v36
	v_mul_f32_e32 v4, 0x4f800000, v3
	v_cmp_gt_f32_e32 vcc, s19, v3
	v_cndmask_b32_e32 v3, v3, v4, vcc
	v_sqrt_f32_e32 v4, v3
	v_add_u32_e32 v5, -1, v4
	v_fma_f32 v6, -v5, v4, v3
	v_cmp_ge_f32_e64 s[0:1], 0, v6
	v_add_u32_e32 v6, 1, v4
	v_cndmask_b32_e64 v5, v4, v5, s[0:1]
	v_fma_f32 v4, -v6, v4, v3
	v_cmp_lt_f32_e64 s[0:1], 0, v4
	v_cndmask_b32_e64 v4, v5, v6, s[0:1]
	v_mul_f32_e32 v5, 0x37800000, v4
	v_cndmask_b32_e32 v4, v4, v5, vcc
	v_cmp_class_f32_e32 vcc, v3, v23
	v_cndmask_b32_e32 v9, v4, v3, vcc
	v_cmp_gt_f32_e64 s[0:1], |v9|, s23
	s_and_saveexec_b64 s[8:9], s[0:1]
	s_cbranch_execz .LBB0_19
; %bb.18:                               ;   in Loop: Header=BB0_7 Depth=2
	v_div_scale_f32 v3, s[0:1], v9, v9, v34
	v_div_scale_f32 v4, s[0:1], v9, v9, v35
	v_div_scale_f32 v5, vcc, v34, v9, v34
	v_div_scale_f32 v10, s[2:3], v9, v9, v36
	v_div_scale_f32 v6, s[0:1], v35, v9, v35
	;; [unrolled: 1-line block ×3, first 2 shown]
	v_rcp_f32_e32 v11, v3
	v_rcp_f32_e32 v13, v4
	v_fma_f32 v40, -v3, v11, 1.0
	v_fmac_f32_e32 v11, v40, v11
	v_mul_f32_e32 v40, v5, v11
	v_fma_f32 v42, -v3, v40, v5
	v_fma_f32 v41, -v4, v13, 1.0
	v_fmac_f32_e32 v40, v42, v11
	v_fmac_f32_e32 v13, v41, v13
	v_fma_f32 v3, -v3, v40, v5
	v_rcp_f32_e32 v5, v10
	v_mul_f32_e32 v41, v6, v13
	v_fma_f32 v43, -v4, v41, v6
	v_fmac_f32_e32 v41, v43, v13
	v_fma_f32 v4, -v4, v41, v6
	v_fma_f32 v6, -v10, v5, 1.0
	v_fmac_f32_e32 v5, v6, v5
	v_mul_f32_e32 v6, v14, v5
	v_div_fmas_f32 v3, v3, v11, v40
	v_fma_f32 v11, -v10, v6, v14
	s_mov_b64 vcc, s[0:1]
	v_fmac_f32_e32 v6, v11, v5
	v_div_fmas_f32 v4, v4, v13, v41
	v_fma_f32 v10, -v10, v6, v14
	s_mov_b64 vcc, s[2:3]
	v_div_fmas_f32 v5, v10, v5, v6
	v_div_fixup_f32 v34, v3, v9, v34
	v_div_fixup_f32 v35, v4, v9, v35
	;; [unrolled: 1-line block ×3, first 2 shown]
.LBB0_19:                               ;   in Loop: Header=BB0_7 Depth=2
	s_or_b64 exec, exec, s[8:9]
	v_mov_b32_e32 v40, 1
	v_mov_b32_e32 v41, v0
.LBB0_20:                               ;   in Loop: Header=BB0_7 Depth=2
	s_or_b64 exec, exec, s[6:7]
.LBB0_21:                               ;   in Loop: Header=BB0_7 Depth=2
	s_or_b64 exec, exec, s[4:5]
	v_sub_f32_e64 v0, 0, s29
	v_mul_f32_e32 v0, v39, v0
	v_fmac_f32_e32 v0, v1, v15
	v_fmac_f32_e32 v0, v38, v19
	v_fma_f32 v9, v0, v0, v22
	v_cmp_lt_f32_e32 vcc, 0, v9
	s_and_saveexec_b64 s[4:5], vcc
	s_cbranch_execz .LBB0_27
; %bb.22:                               ;   in Loop: Header=BB0_7 Depth=2
	v_mul_f32_e32 v3, 0x4f800000, v9
	v_cmp_gt_f32_e32 vcc, s19, v9
	v_cndmask_b32_e32 v3, v9, v3, vcc
	v_sqrt_f32_e32 v4, v3
	v_add_u32_e32 v5, -1, v4
	v_fma_f32 v9, -v5, v4, v3
	v_add_u32_e32 v6, 1, v4
	v_cmp_ge_f32_e64 s[0:1], 0, v9
	v_cndmask_b32_e64 v5, v4, v5, s[0:1]
	v_fma_f32 v4, -v6, v4, v3
	v_cmp_lt_f32_e64 s[0:1], 0, v4
	v_cndmask_b32_e64 v4, v5, v6, s[0:1]
	v_mul_f32_e32 v5, 0x37800000, v4
	v_cndmask_b32_e32 v4, v4, v5, vcc
	v_cmp_class_f32_e32 vcc, v3, v23
	v_cndmask_b32_e32 v3, v4, v3, vcc
	v_sub_f32_e64 v0, -v0, v3
	v_cmp_lt_f32_e32 vcc, 0, v0
	v_cmp_lt_f32_e64 s[0:1], v0, v41
	s_and_b64 s[0:1], vcc, s[0:1]
	s_and_saveexec_b64 s[6:7], s[0:1]
	s_cbranch_execz .LBB0_26
; %bb.23:                               ;   in Loop: Header=BB0_7 Depth=2
	v_fma_f32 v32, v39, v0, 0
	v_fma_f32 v30, v1, v0, 0
	v_subrev_f32_e32 v35, s29, v32
	v_fma_f32 v33, v38, v0, 0
	v_subrev_f32_e32 v34, s28, v30
	v_mul_f32_e32 v3, v35, v35
	v_subrev_f32_e32 v36, s30, v33
	v_fmac_f32_e32 v3, v34, v34
	v_fmac_f32_e32 v3, v36, v36
	v_mul_f32_e32 v4, 0x4f800000, v3
	v_cmp_gt_f32_e32 vcc, s19, v3
	v_cndmask_b32_e32 v3, v3, v4, vcc
	v_sqrt_f32_e32 v4, v3
	v_add_u32_e32 v5, -1, v4
	v_fma_f32 v6, -v5, v4, v3
	v_cmp_ge_f32_e64 s[0:1], 0, v6
	v_add_u32_e32 v6, 1, v4
	v_cndmask_b32_e64 v5, v4, v5, s[0:1]
	v_fma_f32 v4, -v6, v4, v3
	v_cmp_lt_f32_e64 s[0:1], 0, v4
	v_cndmask_b32_e64 v4, v5, v6, s[0:1]
	v_mul_f32_e32 v5, 0x37800000, v4
	v_cndmask_b32_e32 v4, v4, v5, vcc
	v_cmp_class_f32_e32 vcc, v3, v23
	v_cndmask_b32_e32 v9, v4, v3, vcc
	v_cmp_gt_f32_e64 s[0:1], |v9|, s23
	s_and_saveexec_b64 s[8:9], s[0:1]
	s_cbranch_execz .LBB0_25
; %bb.24:                               ;   in Loop: Header=BB0_7 Depth=2
	v_div_scale_f32 v3, s[0:1], v9, v9, v34
	v_div_scale_f32 v4, s[0:1], v9, v9, v35
	v_div_scale_f32 v5, vcc, v34, v9, v34
	v_div_scale_f32 v10, s[2:3], v9, v9, v36
	v_div_scale_f32 v6, s[0:1], v35, v9, v35
	;; [unrolled: 1-line block ×3, first 2 shown]
	v_rcp_f32_e32 v11, v3
	v_rcp_f32_e32 v13, v4
	v_fma_f32 v40, -v3, v11, 1.0
	v_fmac_f32_e32 v11, v40, v11
	v_mul_f32_e32 v40, v5, v11
	v_fma_f32 v42, -v3, v40, v5
	v_fma_f32 v41, -v4, v13, 1.0
	v_fmac_f32_e32 v40, v42, v11
	v_fmac_f32_e32 v13, v41, v13
	v_fma_f32 v3, -v3, v40, v5
	v_rcp_f32_e32 v5, v10
	v_mul_f32_e32 v41, v6, v13
	v_fma_f32 v43, -v4, v41, v6
	v_fmac_f32_e32 v41, v43, v13
	v_fma_f32 v4, -v4, v41, v6
	v_fma_f32 v6, -v10, v5, 1.0
	v_fmac_f32_e32 v5, v6, v5
	v_mul_f32_e32 v6, v14, v5
	v_div_fmas_f32 v3, v3, v11, v40
	v_fma_f32 v11, -v10, v6, v14
	s_mov_b64 vcc, s[0:1]
	v_fmac_f32_e32 v6, v11, v5
	v_div_fmas_f32 v4, v4, v13, v41
	v_fma_f32 v10, -v10, v6, v14
	s_mov_b64 vcc, s[2:3]
	v_div_fmas_f32 v5, v10, v5, v6
	v_div_fixup_f32 v34, v3, v9, v34
	v_div_fixup_f32 v35, v4, v9, v35
	;; [unrolled: 1-line block ×3, first 2 shown]
.LBB0_25:                               ;   in Loop: Header=BB0_7 Depth=2
	s_or_b64 exec, exec, s[8:9]
	v_mov_b32_e32 v40, 1
	v_mov_b32_e32 v41, v0
.LBB0_26:                               ;   in Loop: Header=BB0_7 Depth=2
	s_or_b64 exec, exec, s[6:7]
.LBB0_27:                               ;   in Loop: Header=BB0_7 Depth=2
	s_or_b64 exec, exec, s[4:5]
	v_mul_f32_e32 v0, s12, v39
	v_fmac_f32_e32 v0, s11, v1
	v_fmac_f32_e32 v0, s13, v38
	v_cmp_nlt_f32_e64 s[0:1], |v0|, s23
	s_and_saveexec_b64 s[2:3], s[0:1]
	s_cbranch_execz .LBB0_31
; %bb.28:                               ;   in Loop: Header=BB0_7 Depth=2
	v_div_scale_f32 v3, s[0:1], v0, v0, -v12
	v_div_scale_f32 v4, vcc, -v12, v0, -v12
	v_rcp_f32_e32 v5, v3
	v_fma_f32 v6, -v3, v5, 1.0
	v_fmac_f32_e32 v5, v6, v5
	v_mul_f32_e32 v6, v4, v5
	v_fma_f32 v9, -v3, v6, v4
	v_fmac_f32_e32 v6, v9, v5
	v_fma_f32 v3, -v3, v6, v4
	v_div_fmas_f32 v3, v3, v5, v6
	v_div_fixup_f32 v0, v3, v0, -v12
	v_cmp_lt_f32_e32 vcc, 0, v0
	v_cmp_lt_f32_e64 s[0:1], v0, v41
	s_and_b64 s[4:5], vcc, s[0:1]
	s_and_saveexec_b64 s[0:1], s[4:5]
; %bb.29:                               ;   in Loop: Header=BB0_7 Depth=2
	v_fma_f32 v33, v38, v0, 0
	v_fma_f32 v32, v39, v0, 0
	;; [unrolled: 1-line block ×3, first 2 shown]
	v_mov_b32_e32 v40, 1
	v_mov_b32_e32 v34, s11
	;; [unrolled: 1-line block ×4, first 2 shown]
; %bb.30:                               ;   in Loop: Header=BB0_7 Depth=2
	s_or_b64 exec, exec, s[0:1]
	s_or_b64 exec, exec, s[2:3]
	v_cmp_ne_u32_e32 vcc, 0, v40
	s_and_saveexec_b64 s[6:7], vcc
	s_cbranch_execz .LBB0_6
	s_branch .LBB0_32
.LBB0_31:                               ;   in Loop: Header=BB0_7 Depth=2
	s_or_b64 exec, exec, s[2:3]
	v_cmp_ne_u32_e32 vcc, 0, v40
	s_and_saveexec_b64 s[6:7], vcc
	s_cbranch_execz .LBB0_6
.LBB0_32:                               ;   in Loop: Header=BB0_7 Depth=2
	v_cmp_nlt_f32_e64 s[2:3], |v34|, s31
	v_mov_b32_e32 v1, 1.0
	v_mov_b32_e32 v9, 0
	v_mov_b32_e32 v0, 0
	s_and_saveexec_b64 s[0:1], s[2:3]
	s_cbranch_execz .LBB0_38
; %bb.33:                               ;   in Loop: Header=BB0_7 Depth=2
	v_cmp_nlt_f32_e64 s[4:5], |v35|, s31
	v_mov_b32_e32 v0, 1.0
	v_mov_b32_e32 v1, 0
	v_mov_b32_e32 v9, 0
	s_and_saveexec_b64 s[2:3], s[4:5]
	s_cbranch_execz .LBB0_37
; %bb.34:                               ;   in Loop: Header=BB0_7 Depth=2
	v_cmp_nlt_f32_e64 s[8:9], |v36|, s31
	v_mov_b32_e32 v9, 1.0
	v_mov_b32_e32 v0, 0
	v_mov_b32_e32 v1, 0
	s_and_saveexec_b64 s[4:5], s[8:9]
; %bb.35:                               ;   in Loop: Header=BB0_7 Depth=2
	v_mov_b32_e32 v9, 0
	v_mov_b32_e32 v1, 1.0
; %bb.36:                               ;   in Loop: Header=BB0_7 Depth=2
	s_or_b64 exec, exec, s[4:5]
.LBB0_37:                               ;   in Loop: Header=BB0_7 Depth=2
	s_or_b64 exec, exec, s[2:3]
.LBB0_38:                               ;   in Loop: Header=BB0_7 Depth=2
	s_or_b64 exec, exec, s[0:1]
	v_mul_f32_e32 v3, v35, v9
	v_fma_f32 v38, v36, v0, -v3
	v_mul_f32_e32 v3, v36, v1
	v_fma_f32 v39, v34, v9, -v3
	;; [unrolled: 2-line block ×3, first 2 shown]
	v_mul_f32_e32 v0, v39, v39
	v_fmac_f32_e32 v0, v38, v38
	v_fmac_f32_e32 v0, v40, v40
	v_mul_f32_e32 v1, 0x4f800000, v0
	v_cmp_gt_f32_e32 vcc, s19, v0
	v_cndmask_b32_e32 v0, v0, v1, vcc
	v_sqrt_f32_e32 v1, v0
	v_add_u32_e32 v3, -1, v1
	v_fma_f32 v4, -v3, v1, v0
	v_cmp_ge_f32_e64 s[0:1], 0, v4
	v_add_u32_e32 v4, 1, v1
	v_cndmask_b32_e64 v3, v1, v3, s[0:1]
	v_fma_f32 v1, -v4, v1, v0
	v_cmp_lt_f32_e64 s[0:1], 0, v1
	v_cndmask_b32_e64 v1, v3, v4, s[0:1]
	v_mul_f32_e32 v3, 0x37800000, v1
	v_cndmask_b32_e32 v1, v1, v3, vcc
	v_cmp_class_f32_e32 vcc, v0, v23
	v_cndmask_b32_e32 v0, v1, v0, vcc
	v_cmp_gt_f32_e64 s[0:1], |v0|, s23
	s_and_saveexec_b64 s[4:5], s[0:1]
	s_cbranch_execz .LBB0_40
; %bb.39:                               ;   in Loop: Header=BB0_7 Depth=2
	v_div_scale_f32 v1, s[0:1], v0, v0, v38
	v_div_scale_f32 v3, s[0:1], v0, v0, v39
	v_div_scale_f32 v4, vcc, v38, v0, v38
	v_div_scale_f32 v6, s[2:3], v0, v0, v40
	v_div_scale_f32 v5, s[0:1], v39, v0, v39
	;; [unrolled: 1-line block ×3, first 2 shown]
	v_rcp_f32_e32 v9, v1
	v_rcp_f32_e32 v10, v3
	v_fma_f32 v13, -v1, v9, 1.0
	v_fmac_f32_e32 v9, v13, v9
	v_mul_f32_e32 v13, v4, v9
	v_fma_f32 v41, -v1, v13, v4
	v_fma_f32 v14, -v3, v10, 1.0
	v_fmac_f32_e32 v13, v41, v9
	v_fmac_f32_e32 v10, v14, v10
	v_fma_f32 v1, -v1, v13, v4
	v_rcp_f32_e32 v4, v6
	v_mul_f32_e32 v14, v5, v10
	v_fma_f32 v42, -v3, v14, v5
	v_fmac_f32_e32 v14, v42, v10
	v_fma_f32 v3, -v3, v14, v5
	v_fma_f32 v5, -v6, v4, 1.0
	v_fmac_f32_e32 v4, v5, v4
	v_mul_f32_e32 v5, v11, v4
	v_div_fmas_f32 v1, v1, v9, v13
	v_fma_f32 v9, -v6, v5, v11
	s_mov_b64 vcc, s[0:1]
	v_fmac_f32_e32 v5, v9, v4
	v_div_fmas_f32 v3, v3, v10, v14
	v_fma_f32 v6, -v6, v5, v11
	s_mov_b64 vcc, s[2:3]
	v_div_fmas_f32 v4, v6, v4, v5
	v_div_fixup_f32 v38, v1, v0, v38
	v_div_fixup_f32 v39, v3, v0, v39
	;; [unrolled: 1-line block ×3, first 2 shown]
.LBB0_40:                               ;   in Loop: Header=BB0_7 Depth=2
	s_or_b64 exec, exec, s[4:5]
	v_mul_f32_e32 v0, v36, v39
	v_fma_f32 v41, v35, v40, -v0
	v_mul_f32_e32 v0, v34, v40
	v_fma_f32 v42, v36, v38, -v0
	;; [unrolled: 2-line block ×3, first 2 shown]
	v_mul_f32_e32 v0, v42, v42
	v_fmac_f32_e32 v0, v41, v41
	v_fmac_f32_e32 v0, v43, v43
	v_mul_f32_e32 v1, 0x4f800000, v0
	v_cmp_gt_f32_e32 vcc, s19, v0
	v_cndmask_b32_e32 v0, v0, v1, vcc
	v_sqrt_f32_e32 v1, v0
	v_add_u32_e32 v3, -1, v1
	v_fma_f32 v4, -v3, v1, v0
	v_cmp_ge_f32_e64 s[0:1], 0, v4
	v_add_u32_e32 v4, 1, v1
	v_cndmask_b32_e64 v3, v1, v3, s[0:1]
	v_fma_f32 v1, -v4, v1, v0
	v_cmp_lt_f32_e64 s[0:1], 0, v1
	v_cndmask_b32_e64 v1, v3, v4, s[0:1]
	v_mul_f32_e32 v3, 0x37800000, v1
	v_cndmask_b32_e32 v1, v1, v3, vcc
	v_cmp_class_f32_e32 vcc, v0, v23
	v_cndmask_b32_e32 v0, v1, v0, vcc
	v_cmp_gt_f32_e64 s[0:1], |v0|, s23
	s_and_saveexec_b64 s[4:5], s[0:1]
	s_cbranch_execz .LBB0_42
; %bb.41:                               ;   in Loop: Header=BB0_7 Depth=2
	v_div_scale_f32 v1, s[0:1], v0, v0, v41
	v_div_scale_f32 v3, s[0:1], v0, v0, v42
	v_div_scale_f32 v4, vcc, v41, v0, v41
	v_div_scale_f32 v6, s[2:3], v0, v0, v43
	v_div_scale_f32 v5, s[0:1], v42, v0, v42
	;; [unrolled: 1-line block ×3, first 2 shown]
	v_rcp_f32_e32 v9, v1
	v_rcp_f32_e32 v10, v3
	v_fma_f32 v13, -v1, v9, 1.0
	v_fmac_f32_e32 v9, v13, v9
	v_mul_f32_e32 v13, v4, v9
	v_fma_f32 v44, -v1, v13, v4
	v_fma_f32 v14, -v3, v10, 1.0
	v_fmac_f32_e32 v13, v44, v9
	v_fmac_f32_e32 v10, v14, v10
	v_fma_f32 v1, -v1, v13, v4
	v_rcp_f32_e32 v4, v6
	v_mul_f32_e32 v14, v5, v10
	v_fma_f32 v45, -v3, v14, v5
	v_fmac_f32_e32 v14, v45, v10
	v_fma_f32 v3, -v3, v14, v5
	v_fma_f32 v5, -v6, v4, 1.0
	v_fmac_f32_e32 v4, v5, v4
	v_mul_f32_e32 v5, v11, v4
	v_div_fmas_f32 v1, v1, v9, v13
	v_fma_f32 v9, -v6, v5, v11
	s_mov_b64 vcc, s[0:1]
	v_fmac_f32_e32 v5, v9, v4
	v_div_fmas_f32 v3, v3, v10, v14
	v_fma_f32 v6, -v6, v5, v11
	s_mov_b64 vcc, s[2:3]
	v_div_fmas_f32 v4, v6, v4, v5
	v_div_fixup_f32 v41, v1, v0, v41
	v_div_fixup_f32 v42, v3, v0, v42
	;; [unrolled: 1-line block ×3, first 2 shown]
.LBB0_42:                               ;   in Loop: Header=BB0_7 Depth=2
	s_or_b64 exec, exec, s[4:5]
	buffer_load_dword v5, off, s[52:55], 0 offset:24 ; 4-byte Folded Reload
	s_load_dwordx2 s[0:1], s[26:27], 0x14
	s_load_dword s4, s[26:27], 0x1c
	s_load_dwordx2 s[2:3], s[26:27], 0x24
	s_load_dword s5, s[26:27], 0x2c
	v_mov_b32_e32 v0, v30
	v_fmac_f32_e32 v0, 0x38d1b717, v34
	v_mov_b32_e32 v1, v32
	v_fmac_f32_e32 v1, 0x38d1b717, v35
	v_subrev_f32_e32 v44, s16, v0
	v_subrev_f32_e32 v48, s20, v0
	;; [unrolled: 1-line block ×3, first 2 shown]
	v_mul_f32_e32 v0, s11, v0
	v_subrev_f32_e32 v45, s17, v1
	s_waitcnt lgkmcnt(0)
	v_subrev_f32_e32 v49, s0, v1
	v_subrev_f32_e32 v53, s2, v1
	v_fmac_f32_e32 v0, s12, v1
	buffer_load_dword v1, off, s[52:55], 0 offset:20 ; 4-byte Folded Reload
	v_mov_b32_e32 v3, v33
	v_fmac_f32_e32 v3, 0x38d1b717, v36
	v_mul_f32_e32 v4, v44, v44
	v_subrev_f32_e32 v46, s18, v3
	v_fmac_f32_e32 v4, v45, v45
	v_fmac_f32_e32 v4, v46, v46
	v_subrev_f32_e32 v50, s1, v3
	v_subrev_f32_e32 v54, s3, v3
	v_fmac_f32_e32 v0, s13, v3
	v_mov_b32_e32 v56, 0
	s_mov_b32 s49, 0
	s_waitcnt vmcnt(1)
	v_sub_f32_e32 v47, v5, v4
	v_mul_f32_e32 v4, v49, v49
	v_fmac_f32_e32 v4, v48, v48
	v_fmac_f32_e32 v4, v50, v50
	v_fma_f32 v51, s4, s4, -v4
	v_mul_f32_e32 v4, v53, v53
	v_fmac_f32_e32 v4, v52, v52
	v_fmac_f32_e32 v4, v54, v54
	v_fma_f32 v55, s5, s5, -v4
	s_waitcnt vmcnt(0)
	v_sub_f32_e32 v57, v0, v1
	s_branch .LBB0_44
.LBB0_43:                               ;   in Loop: Header=BB0_44 Depth=3
	s_add_i32 s49, s49, 1
	s_cmp_lg_u32 s49, 8
	s_cbranch_scc0 .LBB0_5
.LBB0_44:                               ;   Parent Loop BB0_4 Depth=1
                                        ;     Parent Loop BB0_7 Depth=2
                                        ; =>    This Loop Header: Depth=3
                                        ;         Child Loop BB0_46 Depth 4
	s_mov_b32 s50, 8
	s_branch .LBB0_46
.LBB0_45:                               ;   in Loop: Header=BB0_46 Depth=4
	s_or_b64 exec, exec, s[2:3]
	v_add_f32_e32 v0, 1.0, v56
	s_add_i32 s50, s50, -1
	v_cmp_eq_u32_e32 vcc, 0, v1
	s_cmp_lg_u32 s50, 0
	v_cndmask_b32_e32 v56, v0, v56, vcc
	s_cbranch_scc0 .LBB0_43
.LBB0_46:                               ;   Parent Loop BB0_4 Depth=1
                                        ;     Parent Loop BB0_7 Depth=2
                                        ;       Parent Loop BB0_44 Depth=3
                                        ; =>      This Inner Loop Header: Depth=4
	v_lshrrev_b32_e32 v0, 6, v31
	v_xor_b32_e32 v0, v0, v31
	v_lshlrev_b32_e32 v1, 17, v0
	v_xor_b32_e32 v0, v1, v0
	v_lshrrev_b32_e32 v1, 9, v0
	v_xor_b32_e32 v60, v1, v0
	v_lshrrev_b32_e32 v0, 6, v60
	v_xor_b32_e32 v0, v0, v60
	v_lshlrev_b32_e32 v1, 17, v0
	v_xor_b32_e32 v0, v1, v0
	v_lshrrev_b32_e32 v1, 9, v0
	v_xor_b32_e32 v31, v1, v0
	v_and_or_b32 v0, v31, s34, 1.0
	v_add_f32_e32 v0, -1.0, v0
	v_mul_f32_e32 v58, 0x40c90fdb, v0
	v_and_b32_e32 v59, 0x7fffffff, v58
	v_lshrrev_b32_e32 v0, 23, v59
	v_and_b32_e32 v1, 0x7fffff, v59
	v_cmp_nlt_f32_e64 s[8:9], |v58|, s35
	v_add_u32_e32 v0, 0xffffff88, v0
	v_or_b32_e32 v63, 0x800000, v1
                                        ; implicit-def: $vgpr61
                                        ; implicit-def: $vgpr62
	s_and_saveexec_b64 s[0:1], s[8:9]
	s_xor_b64 s[14:15], exec, s[0:1]
	s_cbranch_execz .LBB0_48
; %bb.47:                               ;   in Loop: Header=BB0_46 Depth=4
	v_mad_u64_u32 v[9:10], s[0:1], v63, s36, 0
	v_cmp_lt_u32_e32 vcc, 63, v0
	v_mov_b32_e32 v1, v10
	v_mad_u64_u32 v[61:62], s[0:1], v63, s37, v[1:2]
	v_mov_b32_e32 v1, v62
	v_mad_u64_u32 v[10:11], s[0:1], v63, s38, v[1:2]
	;; [unrolled: 2-line block ×3, first 2 shown]
	v_cndmask_b32_e32 v1, 0, v27, vcc
	v_add_u32_e32 v6, v1, v0
	v_mov_b32_e32 v1, v4
	v_mad_u64_u32 v[4:5], s[0:1], v63, s40, v[1:2]
	v_cmp_lt_u32_e64 s[0:1], 31, v6
	v_cndmask_b32_e64 v1, 0, v28, s[0:1]
	v_add_u32_e32 v11, v1, v6
	v_mov_b32_e32 v1, v5
	v_mad_u64_u32 v[5:6], s[2:3], v63, s41, v[1:2]
	v_cmp_lt_u32_e64 s[2:3], 31, v11
	v_cndmask_b32_e64 v1, 0, v28, s[2:3]
	v_add_u32_e32 v11, v1, v11
	v_mov_b32_e32 v1, v6
	v_mad_u64_u32 v[13:14], s[4:5], v63, s42, v[1:2]
	v_cndmask_b32_e32 v1, v4, v10, vcc
	v_cndmask_b32_e32 v6, v5, v3, vcc
	;; [unrolled: 1-line block ×4, first 2 shown]
	v_cndmask_b32_e64 v62, v6, v1, s[0:1]
	v_cndmask_b32_e64 v6, v4, v6, s[0:1]
	v_cndmask_b32_e64 v4, v5, v4, s[0:1]
	v_cndmask_b32_e32 v3, v3, v61, vcc
	v_cndmask_b32_e64 v4, v4, v6, s[2:3]
	v_cndmask_b32_e64 v5, v6, v62, s[2:3]
	v_sub_u32_e32 v6, 32, v11
	v_cndmask_b32_e64 v1, v1, v3, s[0:1]
	v_alignbit_b32 v13, v4, v5, v6
	v_cmp_eq_u32_e64 s[4:5], 0, v11
	v_cndmask_b32_e64 v11, v62, v1, s[2:3]
	v_cndmask_b32_e64 v4, v13, v4, s[4:5]
	v_alignbit_b32 v13, v5, v11, v6
	v_cndmask_b32_e32 v9, v10, v9, vcc
	v_cndmask_b32_e64 v5, v13, v5, s[4:5]
	v_bfe_u32 v61, v4, 29, 1
	v_cndmask_b32_e64 v3, v3, v9, s[0:1]
	v_alignbit_b32 v13, v4, v5, 30
	v_sub_u32_e32 v62, 0, v61
	v_cndmask_b32_e64 v1, v1, v3, s[2:3]
	v_xor_b32_e32 v13, v13, v62
	v_alignbit_b32 v3, v11, v1, v6
	v_cndmask_b32_e64 v3, v3, v11, s[4:5]
	v_ffbh_u32_e32 v6, v13
	v_alignbit_b32 v5, v5, v3, 30
	v_min_u32_e32 v6, 32, v6
	v_alignbit_b32 v1, v3, v1, 30
	v_xor_b32_e32 v5, v5, v62
	v_sub_u32_e32 v9, 31, v6
	v_xor_b32_e32 v1, v1, v62
	v_alignbit_b32 v10, v13, v5, v9
	v_alignbit_b32 v1, v5, v1, v9
	;; [unrolled: 1-line block ×3, first 2 shown]
	v_ffbh_u32_e32 v5, v3
	v_min_u32_e32 v5, 32, v5
	v_lshrrev_b32_e32 v14, 29, v4
	v_not_b32_e32 v9, v5
	v_alignbit_b32 v1, v3, v1, v9
	v_lshlrev_b32_e32 v3, 31, v14
	v_or_b32_e32 v9, 0x33000000, v3
	v_add_lshl_u32 v5, v5, v6, 23
	v_lshrrev_b32_e32 v1, 9, v1
	v_sub_u32_e32 v5, v9, v5
	v_or_b32_e32 v3, 0.5, v3
	v_lshlrev_b32_e32 v6, 23, v6
	v_or_b32_e32 v1, v5, v1
	v_lshrrev_b32_e32 v5, 9, v10
	v_sub_u32_e32 v3, v3, v6
	v_or_b32_e32 v3, v5, v3
	v_mul_f32_e32 v5, 0x3fc90fda, v3
	v_fma_f32 v6, v3, s43, -v5
	v_fmac_f32_e32 v6, 0x33a22168, v3
	v_fmac_f32_e32 v6, 0x3fc90fda, v1
	v_lshrrev_b32_e32 v1, 30, v4
	v_add_f32_e32 v62, v5, v6
	v_add_u32_e32 v61, v61, v1
.LBB0_48:                               ;   in Loop: Header=BB0_46 Depth=4
	s_or_saveexec_b64 s[0:1], s[14:15]
	v_mul_f32_e64 v1, |v58|, s44
	v_rndne_f32_e32 v1, v1
	s_xor_b64 exec, exec, s[0:1]
; %bb.49:                               ;   in Loop: Header=BB0_46 Depth=4
	v_cvt_i32_f32_e32 v61, v1
	v_fma_f32 v62, v1, s45, |v58|
	v_fmac_f32_e32 v62, 0xb3a22168, v1
	v_fmac_f32_e32 v62, 0xa7c234c4, v1
; %bb.50:                               ;   in Loop: Header=BB0_46 Depth=4
	s_or_b64 exec, exec, s[0:1]
                                        ; implicit-def: $vgpr9
                                        ; implicit-def: $vgpr10
	s_and_saveexec_b64 s[0:1], s[8:9]
	s_xor_b64 s[8:9], exec, s[0:1]
	s_cbranch_execz .LBB0_52
; %bb.51:                               ;   in Loop: Header=BB0_46 Depth=4
	v_mad_u64_u32 v[3:4], s[0:1], v63, s36, 0
	v_cmp_lt_u32_e32 vcc, 63, v0
	v_mov_b32_e32 v1, v4
	v_mad_u64_u32 v[4:5], s[0:1], v63, s37, v[1:2]
	v_mov_b32_e32 v1, v5
	v_mad_u64_u32 v[5:6], s[0:1], v63, s38, v[1:2]
	;; [unrolled: 2-line block ×3, first 2 shown]
	v_cndmask_b32_e32 v1, 0, v27, vcc
	v_add_u32_e32 v6, v1, v0
	v_mov_b32_e32 v1, v10
	v_mad_u64_u32 v[0:1], s[0:1], v63, s40, v[1:2]
	v_cmp_lt_u32_e64 s[0:1], 31, v6
	v_cndmask_b32_e64 v10, 0, v28, s[0:1]
	v_add_u32_e32 v6, v10, v6
	v_mad_u64_u32 v[10:11], s[2:3], v63, s41, v[1:2]
	v_cmp_lt_u32_e64 s[2:3], 31, v6
	v_cndmask_b32_e64 v1, 0, v28, s[2:3]
	v_add_u32_e32 v6, v1, v6
	v_mov_b32_e32 v1, v11
	v_mad_u64_u32 v[13:14], s[4:5], v63, s42, v[1:2]
	v_cndmask_b32_e32 v1, v0, v5, vcc
	v_cndmask_b32_e32 v11, v10, v9, vcc
	;; [unrolled: 1-line block ×4, first 2 shown]
	v_cndmask_b32_e64 v63, v11, v1, s[0:1]
	v_cndmask_b32_e64 v11, v0, v11, s[0:1]
	;; [unrolled: 1-line block ×3, first 2 shown]
	v_cndmask_b32_e32 v4, v9, v4, vcc
	v_cndmask_b32_e64 v0, v0, v11, s[2:3]
	v_cndmask_b32_e64 v10, v11, v63, s[2:3]
	v_sub_u32_e32 v11, 32, v6
	v_cndmask_b32_e64 v1, v1, v4, s[0:1]
	v_alignbit_b32 v13, v0, v10, v11
	v_cmp_eq_u32_e64 s[4:5], 0, v6
	v_cndmask_b32_e64 v6, v63, v1, s[2:3]
	v_cndmask_b32_e64 v0, v13, v0, s[4:5]
	v_alignbit_b32 v9, v10, v6, v11
	v_cndmask_b32_e32 v3, v5, v3, vcc
	v_cndmask_b32_e64 v9, v9, v10, s[4:5]
	v_bfe_u32 v14, v0, 29, 1
	v_cndmask_b32_e64 v3, v4, v3, s[0:1]
	v_alignbit_b32 v10, v0, v9, 30
	v_sub_u32_e32 v63, 0, v14
	v_cndmask_b32_e64 v1, v1, v3, s[2:3]
	v_xor_b32_e32 v10, v10, v63
	v_alignbit_b32 v3, v6, v1, v11
	v_cndmask_b32_e64 v3, v3, v6, s[4:5]
	v_ffbh_u32_e32 v5, v10
	v_alignbit_b32 v4, v9, v3, 30
	v_min_u32_e32 v5, 32, v5
	v_alignbit_b32 v1, v3, v1, 30
	v_xor_b32_e32 v4, v4, v63
	v_sub_u32_e32 v6, 31, v5
	v_xor_b32_e32 v1, v1, v63
	v_alignbit_b32 v9, v10, v4, v6
	v_alignbit_b32 v1, v4, v1, v6
	;; [unrolled: 1-line block ×3, first 2 shown]
	v_ffbh_u32_e32 v4, v3
	v_min_u32_e32 v4, 32, v4
	v_lshrrev_b32_e32 v13, 29, v0
	v_not_b32_e32 v6, v4
	v_alignbit_b32 v1, v3, v1, v6
	v_lshlrev_b32_e32 v3, 31, v13
	v_or_b32_e32 v6, 0x33000000, v3
	v_add_lshl_u32 v4, v4, v5, 23
	v_lshrrev_b32_e32 v1, 9, v1
	v_sub_u32_e32 v4, v6, v4
	v_or_b32_e32 v3, 0.5, v3
	v_lshlrev_b32_e32 v5, 23, v5
	v_or_b32_e32 v1, v4, v1
	v_lshrrev_b32_e32 v4, 9, v9
	v_sub_u32_e32 v3, v3, v5
	v_or_b32_e32 v3, v4, v3
	v_mul_f32_e32 v4, 0x3fc90fda, v3
	v_fma_f32 v5, v3, s43, -v4
	v_fmac_f32_e32 v5, 0x33a22168, v3
	v_fmac_f32_e32 v5, 0x3fc90fda, v1
	v_lshrrev_b32_e32 v0, 30, v0
	v_add_f32_e32 v10, v4, v5
	v_add_u32_e32 v9, v14, v0
                                        ; implicit-def: $vgpr1
	s_andn2_saveexec_b64 s[0:1], s[8:9]
	s_cbranch_execnz .LBB0_53
	s_branch .LBB0_54
.LBB0_52:                               ;   in Loop: Header=BB0_46 Depth=4
	s_andn2_saveexec_b64 s[0:1], s[8:9]
.LBB0_53:                               ;   in Loop: Header=BB0_46 Depth=4
	v_cvt_i32_f32_e32 v9, v1
	v_fma_f32 v10, v1, s45, |v58|
	v_fmac_f32_e32 v10, 0xb3a22168, v1
	v_fmac_f32_e32 v10, 0xa7c234c4, v1
.LBB0_54:                               ;   in Loop: Header=BB0_46 Depth=4
	s_or_b64 exec, exec, s[0:1]
	v_and_or_b32 v0, v60, s34, 1.0
	v_add_f32_e32 v0, -1.0, v0
	v_mul_f32_e32 v1, 0x4f800000, v0
	v_cmp_gt_f32_e32 vcc, s19, v0
	v_cndmask_b32_e32 v0, v0, v1, vcc
	v_sqrt_f32_e32 v1, v0
	v_xor_b32_e32 v6, v59, v58
	v_mov_b32_e32 v60, 0x5bb1a2bc
	v_add_u32_e32 v3, -1, v1
	v_fma_f32 v5, -v3, v1, v0
	v_add_u32_e32 v4, 1, v1
	v_cmp_ge_f32_e64 s[0:1], 0, v5
	v_cndmask_b32_e64 v3, v1, v3, s[0:1]
	v_fma_f32 v1, -v4, v1, v0
	v_cmp_lt_f32_e64 s[0:1], 0, v1
	v_cndmask_b32_e64 v1, v3, v4, s[0:1]
	v_mul_f32_e32 v3, 0x37800000, v1
	v_cndmask_b32_e32 v1, v1, v3, vcc
	v_cmp_class_f32_e32 vcc, v0, v23
	v_cndmask_b32_e32 v0, v1, v0, vcc
	v_mul_f32_e32 v1, v62, v62
	v_mov_b32_e32 v3, 0x3c0881c4
	v_fmac_f32_e32 v3, 0xb94c1982, v1
	v_fma_f32 v3, v1, v3, v24
	v_mul_f32_e32 v3, v1, v3
	v_fmac_f32_e32 v62, v62, v3
	v_mov_b32_e32 v3, 0xbab64f3b
	v_fmac_f32_e32 v3, 0x37d75334, v1
	v_fma_f32 v3, v1, v3, v25
	v_fma_f32 v3, v1, v3, v26
	v_and_b32_e32 v4, 1, v61
	v_fma_f32 v3, v1, v3, 1.0
	v_cmp_eq_u32_e32 vcc, 0, v4
	v_lshlrev_b32_e32 v4, 30, v61
	v_cndmask_b32_e64 v3, -v62, v3, vcc
	v_and_b32_e32 v4, 0x80000000, v4
	v_xor_b32_e32 v3, v4, v3
	v_mul_f32_e32 v4, v10, v10
	v_mov_b32_e32 v5, 0x3c0881c4
	v_fmac_f32_e32 v5, 0xb94c1982, v4
	v_fma_f32 v5, v4, v5, v24
	v_mul_f32_e32 v5, v4, v5
	v_fmac_f32_e32 v10, v10, v5
	v_mov_b32_e32 v5, 0xbab64f3b
	v_fmac_f32_e32 v5, 0x37d75334, v4
	v_fma_f32 v5, v4, v5, v25
	v_fma_f32 v5, v4, v5, v26
	v_fma_f32 v4, v4, v5, 1.0
	v_and_b32_e32 v5, 1, v9
	v_cmp_eq_u32_e64 s[0:1], 0, v5
	v_lshlrev_b32_e32 v5, 30, v9
	v_and_b32_e32 v5, 0x80000000, v5
	v_xor_b32_e32 v5, v6, v5
	v_fma_f32 v6, -v0, v0, 1.0
	v_cndmask_b32_e64 v4, v4, v10, s[0:1]
	v_mul_f32_e32 v9, 0x4f800000, v6
	v_cmp_gt_f32_e64 s[0:1], s19, v6
	v_cndmask_b32_e64 v6, v6, v9, s[0:1]
	v_sqrt_f32_e32 v9, v6
	v_cmp_class_f32_e64 vcc, v58, s46
	v_xor_b32_e32 v4, v5, v4
	v_cndmask_b32_e32 v3, v29, v3, vcc
	v_cndmask_b32_e32 v4, v29, v4, vcc
	v_mul_f32_e32 v3, v0, v3
	v_mul_f32_e32 v4, v0, v4
	v_add_u32_e32 v0, -1, v9
	v_fma_f32 v5, -v0, v9, v6
	v_cmp_ge_f32_e32 vcc, 0, v5
	v_add_u32_e32 v5, 1, v9
	v_cndmask_b32_e32 v0, v9, v0, vcc
	v_fma_f32 v9, -v5, v9, v6
	v_cmp_lt_f32_e32 vcc, 0, v9
	v_cndmask_b32_e32 v0, v0, v5, vcc
	v_mul_f32_e32 v5, 0x37800000, v0
	v_cndmask_b32_e64 v0, v0, v5, s[0:1]
	v_cmp_class_f32_e32 vcc, v6, v23
	v_mul_f32_e32 v58, v42, v4
	v_cndmask_b32_e32 v5, v0, v6, vcc
	v_mul_f32_e32 v0, v41, v4
	v_fmac_f32_e32 v58, v39, v3
	v_fmac_f32_e32 v0, v38, v3
	;; [unrolled: 1-line block ×3, first 2 shown]
	v_mul_f32_e32 v59, v43, v4
	v_fmac_f32_e32 v0, v34, v5
	v_fmac_f32_e32 v59, v40, v3
	v_mul_f32_e32 v9, v45, v58
	v_fmac_f32_e32 v59, v36, v5
	v_fmac_f32_e32 v9, v44, v0
	;; [unrolled: 1-line block ×3, first 2 shown]
	v_fma_f32 v10, v9, v9, v47
	v_mov_b32_e32 v1, 0
	v_cmp_lt_f32_e32 vcc, 0, v10
	s_and_saveexec_b64 s[2:3], vcc
	s_cbranch_execz .LBB0_56
; %bb.55:                               ;   in Loop: Header=BB0_46 Depth=4
	v_mul_f32_e32 v1, 0x4f800000, v10
	v_cmp_gt_f32_e32 vcc, s19, v10
	v_cndmask_b32_e32 v1, v10, v1, vcc
	v_sqrt_f32_e32 v3, v1
	v_add_u32_e32 v4, -1, v3
	v_fma_f32 v6, -v4, v3, v1
	v_add_u32_e32 v5, 1, v3
	v_cmp_ge_f32_e64 s[0:1], 0, v6
	v_cndmask_b32_e64 v4, v3, v4, s[0:1]
	v_fma_f32 v3, -v5, v3, v1
	v_cmp_lt_f32_e64 s[0:1], 0, v3
	v_cndmask_b32_e64 v3, v4, v5, s[0:1]
	v_mul_f32_e32 v4, 0x37800000, v3
	v_cndmask_b32_e32 v3, v3, v4, vcc
	v_cmp_class_f32_e32 vcc, v1, v23
	v_cndmask_b32_e32 v1, v3, v1, vcc
	v_sub_f32_e64 v3, -v9, v1
	v_cmp_lt_f32_e32 vcc, 0, v3
	v_cmp_gt_f32_e64 s[0:1], s47, v3
	s_and_b64 vcc, vcc, s[0:1]
	v_mov_b32_e32 v4, 0x5bb1a2bc
	v_cndmask_b32_e64 v1, 0, 1, vcc
	v_cndmask_b32_e32 v60, v4, v3, vcc
.LBB0_56:                               ;   in Loop: Header=BB0_46 Depth=4
	s_or_b64 exec, exec, s[2:3]
	v_mul_f32_e32 v9, v49, v58
	v_fmac_f32_e32 v9, v48, v0
	v_fmac_f32_e32 v9, v50, v59
	v_fma_f32 v10, v9, v9, v51
	v_cmp_lt_f32_e32 vcc, 0, v10
	s_and_saveexec_b64 s[2:3], vcc
	s_cbranch_execz .LBB0_58
; %bb.57:                               ;   in Loop: Header=BB0_46 Depth=4
	v_mul_f32_e32 v3, 0x4f800000, v10
	v_cmp_gt_f32_e32 vcc, s19, v10
	v_cndmask_b32_e32 v3, v10, v3, vcc
	v_sqrt_f32_e32 v4, v3
	v_add_u32_e32 v5, -1, v4
	v_fma_f32 v10, -v5, v4, v3
	v_add_u32_e32 v6, 1, v4
	v_cmp_ge_f32_e64 s[0:1], 0, v10
	v_cndmask_b32_e64 v5, v4, v5, s[0:1]
	v_fma_f32 v4, -v6, v4, v3
	v_cmp_lt_f32_e64 s[0:1], 0, v4
	v_cndmask_b32_e64 v4, v5, v6, s[0:1]
	v_mul_f32_e32 v5, 0x37800000, v4
	v_cndmask_b32_e32 v4, v4, v5, vcc
	v_cmp_class_f32_e32 vcc, v3, v23
	v_cndmask_b32_e32 v3, v4, v3, vcc
	v_sub_f32_e64 v3, -v9, v3
	v_cmp_lt_f32_e32 vcc, 0, v3
	v_cmp_lt_f32_e64 s[0:1], v3, v60
	s_and_b64 vcc, vcc, s[0:1]
	v_cndmask_b32_e64 v1, v1, 1, vcc
	v_cndmask_b32_e32 v60, v60, v3, vcc
.LBB0_58:                               ;   in Loop: Header=BB0_46 Depth=4
	s_or_b64 exec, exec, s[2:3]
	v_mul_f32_e32 v9, v53, v58
	v_fmac_f32_e32 v9, v52, v0
	v_fmac_f32_e32 v9, v54, v59
	v_fma_f32 v10, v9, v9, v55
	v_cmp_lt_f32_e32 vcc, 0, v10
	s_and_saveexec_b64 s[2:3], vcc
	s_cbranch_execz .LBB0_60
; %bb.59:                               ;   in Loop: Header=BB0_46 Depth=4
	v_mul_f32_e32 v3, 0x4f800000, v10
	v_cmp_gt_f32_e32 vcc, s19, v10
	v_cndmask_b32_e32 v3, v10, v3, vcc
	v_sqrt_f32_e32 v4, v3
	v_add_u32_e32 v5, -1, v4
	v_fma_f32 v10, -v5, v4, v3
	v_add_u32_e32 v6, 1, v4
	v_cmp_ge_f32_e64 s[0:1], 0, v10
	v_cndmask_b32_e64 v5, v4, v5, s[0:1]
	v_fma_f32 v4, -v6, v4, v3
	v_cmp_lt_f32_e64 s[0:1], 0, v4
	v_cndmask_b32_e64 v4, v5, v6, s[0:1]
	v_mul_f32_e32 v5, 0x37800000, v4
	v_cndmask_b32_e32 v4, v4, v5, vcc
	v_cmp_class_f32_e32 vcc, v3, v23
	v_cndmask_b32_e32 v3, v4, v3, vcc
	v_sub_f32_e64 v3, -v9, v3
	v_cmp_lt_f32_e32 vcc, 0, v3
	v_cmp_lt_f32_e64 s[0:1], v3, v60
	s_and_b64 vcc, vcc, s[0:1]
	v_cndmask_b32_e64 v1, v1, 1, vcc
	v_cndmask_b32_e32 v60, v60, v3, vcc
.LBB0_60:                               ;   in Loop: Header=BB0_46 Depth=4
	s_or_b64 exec, exec, s[2:3]
	v_mul_f32_e32 v9, s12, v58
	v_fmac_f32_e32 v9, s11, v0
	v_fmac_f32_e32 v9, s13, v59
	v_cmp_nlt_f32_e64 s[0:1], |v9|, s23
	s_and_saveexec_b64 s[2:3], s[0:1]
	s_cbranch_execz .LBB0_45
; %bb.61:                               ;   in Loop: Header=BB0_46 Depth=4
	v_div_scale_f32 v0, s[0:1], v9, v9, -v57
	v_div_scale_f32 v3, vcc, -v57, v9, -v57
	v_rcp_f32_e32 v4, v0
	v_fma_f32 v5, -v0, v4, 1.0
	v_fmac_f32_e32 v4, v5, v4
	v_mul_f32_e32 v5, v3, v4
	v_fma_f32 v6, -v0, v5, v3
	v_fmac_f32_e32 v5, v6, v4
	v_fma_f32 v0, -v0, v5, v3
	v_div_fmas_f32 v0, v0, v4, v5
	v_div_fixup_f32 v0, v0, v9, -v57
	v_cmp_lt_f32_e32 vcc, 0, v0
	v_cmp_lt_f32_e64 s[0:1], v0, v60
	s_and_b64 s[0:1], vcc, s[0:1]
	v_cndmask_b32_e64 v1, v1, 1, s[0:1]
	s_branch .LBB0_45
.LBB0_62:
	buffer_load_dword v14, off, s[52:55], 0 offset:36 ; 4-byte Folded Reload
	buffer_load_dword v15, off, s[52:55], 0 offset:40 ; 4-byte Folded Reload
	s_branch .LBB0_64
.LBB0_63:
	v_mov_b32_e32 v16, 0
	v_mov_b32_e32 v17, 0
	;; [unrolled: 1-line block ×3, first 2 shown]
.LBB0_64:
	s_mul_i32 s33, s33, s33
	v_cvt_f32_u32_e32 v0, s33
	v_div_scale_f32 v1, s[0:1], v0, v0, v16
	v_div_scale_f32 v2, s[0:1], v0, v0, v17
	v_div_scale_f32 v3, s[0:1], v0, v0, v18
	v_div_scale_f32 v4, vcc, v16, v0, v16
	v_div_scale_f32 v5, s[0:1], v17, v0, v17
	v_div_scale_f32 v8, s[2:3], v18, v0, v18
	v_rcp_f32_e32 v6, v1
	v_rcp_f32_e32 v7, v2
	;; [unrolled: 1-line block ×3, first 2 shown]
	v_fma_f32 v10, -v1, v6, 1.0
	v_fmac_f32_e32 v6, v10, v6
	v_mul_f32_e32 v10, v4, v6
	v_fma_f32 v11, -v2, v7, 1.0
	v_fma_f32 v12, -v1, v10, v4
	v_fmac_f32_e32 v7, v11, v7
	v_fmac_f32_e32 v10, v12, v6
	v_mul_f32_e32 v11, v5, v7
	v_fma_f32 v1, -v1, v10, v4
	v_fma_f32 v4, -v3, v9, 1.0
	v_fma_f32 v13, -v2, v11, v5
	v_fmac_f32_e32 v9, v4, v9
	v_fmac_f32_e32 v11, v13, v7
	v_mul_f32_e32 v4, v8, v9
	v_fma_f32 v2, -v2, v11, v5
	v_fma_f32 v5, -v3, v4, v8
	v_div_fmas_f32 v1, v1, v6, v10
	s_mov_b64 vcc, s[0:1]
	v_fmac_f32_e32 v4, v5, v9
	v_div_fmas_f32 v2, v2, v7, v11
	v_fma_f32 v3, -v3, v4, v8
	s_mov_b64 vcc, s[2:3]
	v_div_fmas_f32 v3, v3, v9, v4
	v_mov_b32_e32 v4, 0xff
	s_waitcnt vmcnt(1)
	v_lshl_add_u32 v5, v14, 1, v14
	v_mov_b32_e32 v6, s25
	v_ashrrev_i32_e32 v7, 31, v5
	v_div_fixup_f32 v1, v1, v0, v16
	v_mul_f32_e32 v1, 0x437f8000, v1
	v_cvt_i32_f32_e32 v1, v1
	v_div_fixup_f32 v2, v2, v0, v17
	v_mul_f32_e32 v2, 0x437f8000, v2
	v_cvt_i32_f32_e32 v2, v2
	;; [unrolled: 3-line block ×3, first 2 shown]
	v_add_co_u32_e32 v0, vcc, s24, v5
	v_med3_i32 v2, v2, 0, v4
	v_med3_i32 v3, v1, 0, v4
	v_addc_co_u32_e32 v1, vcc, v6, v7, vcc
	v_med3_i32 v4, v8, 0, v4
	v_lshlrev_b16_e32 v2, 8, v2
	v_or_b32_sdwa v2, v3, v2 dst_sel:DWORD dst_unused:UNUSED_PAD src0_sel:BYTE_0 src1_sel:DWORD
	global_store_byte v[0:1], v4, off offset:2
	global_store_short v[0:1], v2, off
.LBB0_65:
	s_endpgm
	.section	.rodata,"a",@progbits
	.p2align	6, 0x0
	.amdhsa_kernel _Z13render_kernelPhPK7_Sphere6_Planeiii
		.amdhsa_group_segment_fixed_size 0
		.amdhsa_private_segment_fixed_size 48
		.amdhsa_kernarg_size 312
		.amdhsa_user_sgpr_count 6
		.amdhsa_user_sgpr_private_segment_buffer 1
		.amdhsa_user_sgpr_dispatch_ptr 0
		.amdhsa_user_sgpr_queue_ptr 0
		.amdhsa_user_sgpr_kernarg_segment_ptr 1
		.amdhsa_user_sgpr_dispatch_id 0
		.amdhsa_user_sgpr_flat_scratch_init 0
		.amdhsa_user_sgpr_private_segment_size 0
		.amdhsa_uses_dynamic_stack 0
		.amdhsa_system_sgpr_private_segment_wavefront_offset 1
		.amdhsa_system_sgpr_workgroup_id_x 1
		.amdhsa_system_sgpr_workgroup_id_y 1
		.amdhsa_system_sgpr_workgroup_id_z 0
		.amdhsa_system_sgpr_workgroup_info 0
		.amdhsa_system_vgpr_workitem_id 1
		.amdhsa_next_free_vgpr 64
		.amdhsa_next_free_sgpr 56
		.amdhsa_reserve_vcc 1
		.amdhsa_reserve_flat_scratch 0
		.amdhsa_float_round_mode_32 0
		.amdhsa_float_round_mode_16_64 0
		.amdhsa_float_denorm_mode_32 3
		.amdhsa_float_denorm_mode_16_64 3
		.amdhsa_dx10_clamp 1
		.amdhsa_ieee_mode 1
		.amdhsa_fp16_overflow 0
		.amdhsa_exception_fp_ieee_invalid_op 0
		.amdhsa_exception_fp_denorm_src 0
		.amdhsa_exception_fp_ieee_div_zero 0
		.amdhsa_exception_fp_ieee_overflow 0
		.amdhsa_exception_fp_ieee_underflow 0
		.amdhsa_exception_fp_ieee_inexact 0
		.amdhsa_exception_int_div_zero 0
	.end_amdhsa_kernel
	.text
.Lfunc_end0:
	.size	_Z13render_kernelPhPK7_Sphere6_Planeiii, .Lfunc_end0-_Z13render_kernelPhPK7_Sphere6_Planeiii
                                        ; -- End function
	.set _Z13render_kernelPhPK7_Sphere6_Planeiii.num_vgpr, 64
	.set _Z13render_kernelPhPK7_Sphere6_Planeiii.num_agpr, 0
	.set _Z13render_kernelPhPK7_Sphere6_Planeiii.numbered_sgpr, 56
	.set _Z13render_kernelPhPK7_Sphere6_Planeiii.num_named_barrier, 0
	.set _Z13render_kernelPhPK7_Sphere6_Planeiii.private_seg_size, 48
	.set _Z13render_kernelPhPK7_Sphere6_Planeiii.uses_vcc, 1
	.set _Z13render_kernelPhPK7_Sphere6_Planeiii.uses_flat_scratch, 0
	.set _Z13render_kernelPhPK7_Sphere6_Planeiii.has_dyn_sized_stack, 0
	.set _Z13render_kernelPhPK7_Sphere6_Planeiii.has_recursion, 0
	.set _Z13render_kernelPhPK7_Sphere6_Planeiii.has_indirect_call, 0
	.section	.AMDGPU.csdata,"",@progbits
; Kernel info:
; codeLenInByte = 7328
; TotalNumSgprs: 60
; NumVgprs: 64
; ScratchSize: 48
; MemoryBound: 0
; FloatMode: 240
; IeeeMode: 1
; LDSByteSize: 0 bytes/workgroup (compile time only)
; SGPRBlocks: 7
; VGPRBlocks: 15
; NumSGPRsForWavesPerEU: 60
; NumVGPRsForWavesPerEU: 64
; Occupancy: 4
; WaveLimiterHint : 0
; COMPUTE_PGM_RSRC2:SCRATCH_EN: 1
; COMPUTE_PGM_RSRC2:USER_SGPR: 6
; COMPUTE_PGM_RSRC2:TRAP_HANDLER: 0
; COMPUTE_PGM_RSRC2:TGID_X_EN: 1
; COMPUTE_PGM_RSRC2:TGID_Y_EN: 1
; COMPUTE_PGM_RSRC2:TGID_Z_EN: 0
; COMPUTE_PGM_RSRC2:TIDIG_COMP_CNT: 1
	.section	.AMDGPU.gpr_maximums,"",@progbits
	.set amdgpu.max_num_vgpr, 0
	.set amdgpu.max_num_agpr, 0
	.set amdgpu.max_num_sgpr, 0
	.section	.AMDGPU.csdata,"",@progbits
	.type	__hip_cuid_cdb7e86bbddd0526,@object ; @__hip_cuid_cdb7e86bbddd0526
	.section	.bss,"aw",@nobits
	.globl	__hip_cuid_cdb7e86bbddd0526
__hip_cuid_cdb7e86bbddd0526:
	.byte	0                               ; 0x0
	.size	__hip_cuid_cdb7e86bbddd0526, 1

	.ident	"AMD clang version 22.0.0git (https://github.com/RadeonOpenCompute/llvm-project roc-7.2.4 26084 f58b06dce1f9c15707c5f808fd002e18c2accf7e)"
	.section	".note.GNU-stack","",@progbits
	.addrsig
	.addrsig_sym __hip_cuid_cdb7e86bbddd0526
	.amdgpu_metadata
---
amdhsa.kernels:
  - .args:
      - .address_space:  global
        .offset:         0
        .size:           8
        .value_kind:     global_buffer
      - .address_space:  global
        .offset:         8
        .size:           8
        .value_kind:     global_buffer
      - .offset:         16
        .size:           24
        .value_kind:     by_value
      - .offset:         40
        .size:           4
        .value_kind:     by_value
      - .offset:         44
        .size:           4
        .value_kind:     by_value
      - .offset:         48
        .size:           4
        .value_kind:     by_value
      - .offset:         56
        .size:           4
        .value_kind:     hidden_block_count_x
      - .offset:         60
        .size:           4
        .value_kind:     hidden_block_count_y
      - .offset:         64
        .size:           4
        .value_kind:     hidden_block_count_z
      - .offset:         68
        .size:           2
        .value_kind:     hidden_group_size_x
      - .offset:         70
        .size:           2
        .value_kind:     hidden_group_size_y
      - .offset:         72
        .size:           2
        .value_kind:     hidden_group_size_z
      - .offset:         74
        .size:           2
        .value_kind:     hidden_remainder_x
      - .offset:         76
        .size:           2
        .value_kind:     hidden_remainder_y
      - .offset:         78
        .size:           2
        .value_kind:     hidden_remainder_z
      - .offset:         96
        .size:           8
        .value_kind:     hidden_global_offset_x
      - .offset:         104
        .size:           8
        .value_kind:     hidden_global_offset_y
      - .offset:         112
        .size:           8
        .value_kind:     hidden_global_offset_z
      - .offset:         120
        .size:           2
        .value_kind:     hidden_grid_dims
    .group_segment_fixed_size: 0
    .kernarg_segment_align: 8
    .kernarg_segment_size: 312
    .language:       OpenCL C
    .language_version:
      - 2
      - 0
    .max_flat_workgroup_size: 1024
    .name:           _Z13render_kernelPhPK7_Sphere6_Planeiii
    .private_segment_fixed_size: 48
    .sgpr_count:     60
    .sgpr_spill_count: 0
    .symbol:         _Z13render_kernelPhPK7_Sphere6_Planeiii.kd
    .uniform_work_group_size: 1
    .uses_dynamic_stack: false
    .vgpr_count:     64
    .vgpr_spill_count: 11
    .wavefront_size: 64
amdhsa.target:   amdgcn-amd-amdhsa--gfx906
amdhsa.version:
  - 1
  - 2
...

	.end_amdgpu_metadata
